;; amdgpu-corpus repo=zjin-lcf/HeCBench kind=compiled arch=gfx1100 opt=O3
	.text
	.amdgcn_target "amdgcn-amd-amdhsa--gfx1100"
	.amdhsa_code_object_version 6
	.section	.text._Z6kernelIfLi1ELi16ELi96ELi3ELi4ELi16EEvT_S0_iiPKS0_S2_PS0_S3_,"axG",@progbits,_Z6kernelIfLi1ELi16ELi96ELi3ELi4ELi16EEvT_S0_iiPKS0_S2_PS0_S3_,comdat
	.protected	_Z6kernelIfLi1ELi16ELi96ELi3ELi4ELi16EEvT_S0_iiPKS0_S2_PS0_S3_ ; -- Begin function _Z6kernelIfLi1ELi16ELi96ELi3ELi4ELi16EEvT_S0_iiPKS0_S2_PS0_S3_
	.globl	_Z6kernelIfLi1ELi16ELi96ELi3ELi4ELi16EEvT_S0_iiPKS0_S2_PS0_S3_
	.p2align	8
	.type	_Z6kernelIfLi1ELi16ELi96ELi3ELi4ELi16EEvT_S0_iiPKS0_S2_PS0_S3_,@function
_Z6kernelIfLi1ELi16ELi96ELi3ELi4ELi16EEvT_S0_iiPKS0_S2_PS0_S3_: ; @_Z6kernelIfLi1ELi16ELi96ELi3ELi4ELi16EEvT_S0_iiPKS0_S2_PS0_S3_
; %bb.0:
	s_clause 0x1
	s_load_b128 s[16:19], s[0:1], 0x0
	s_load_b128 s[8:11], s[0:1], 0x20
	v_and_b32_e32 v3, 0x3ff, v0
	v_bfe_u32 v10, v0, 10, 10
	s_mulk_i32 s15, 0x58
	s_delay_alu instid0(VALU_DEP_2) | instskip(NEXT) | instid1(VALU_DEP_2)
	v_mad_u64_u32 v[1:2], null, s14, 10, v[3:4]
	v_add_nc_u32_e32 v11, s15, v10
	s_delay_alu instid0(VALU_DEP_2) | instskip(NEXT) | instid1(VALU_DEP_1)
	v_add_nc_u32_e32 v2, -3, v1
	v_cmp_lt_i32_e64 s3, -1, v2
	s_waitcnt lgkmcnt(0)
	v_cmp_gt_i32_e64 s2, s18, v2
	s_delay_alu instid0(VALU_DEP_1) | instskip(NEXT) | instid1(SALU_CYCLE_1)
	s_and_b32 s4, s3, s2
	s_and_saveexec_b32 s12, s4
	s_cbranch_execz .LBB0_13
; %bb.1:
	s_load_b128 s[4:7], s[0:1], 0x10
	v_add_nc_u32_e32 v0, -4, v11
	s_delay_alu instid0(VALU_DEP_1) | instskip(SKIP_2) | instid1(VALU_DEP_1)
	v_mad_u64_u32 v[4:5], null, v0, s18, v[2:3]
	v_cmp_lt_i32_e32 vcc_lo, -1, v0
	v_cmp_gt_i32_e64 s0, s19, v0
	s_and_b32 s1, vcc_lo, s0
	s_delay_alu instid0(SALU_CYCLE_1)
	s_and_saveexec_b32 s0, s1
	s_cbranch_execz .LBB0_3
; %bb.2:
	s_delay_alu instid0(VALU_DEP_3) | instskip(NEXT) | instid1(VALU_DEP_1)
	v_ashrrev_i32_e32 v5, 31, v4
	v_lshlrev_b64 v[5:6], 2, v[4:5]
	s_waitcnt lgkmcnt(0)
	s_delay_alu instid0(VALU_DEP_1) | instskip(NEXT) | instid1(VALU_DEP_2)
	v_add_co_u32 v7, vcc_lo, s4, v5
	v_add_co_ci_u32_e32 v8, vcc_lo, s5, v6, vcc_lo
	v_add_co_u32 v5, vcc_lo, s6, v5
	v_add_co_ci_u32_e32 v6, vcc_lo, s7, v6, vcc_lo
	global_load_b32 v0, v[7:8], off
	global_load_b32 v5, v[5:6], off
	v_lshlrev_b32_e32 v6, 2, v3
	s_delay_alu instid0(VALU_DEP_1)
	v_lshl_add_u32 v6, v10, 6, v6
	s_waitcnt vmcnt(0)
	ds_store_2addr_stride64_b32 v6, v5, v0 offset1:24
.LBB0_3:
	s_or_b32 exec_lo, exec_lo, s0
	v_add_nc_u32_e32 v0, 12, v11
	s_lshl_b32 s1, s18, 4
	s_delay_alu instid0(SALU_CYCLE_1) | instskip(NEXT) | instid1(VALU_DEP_2)
	v_add_nc_u32_e32 v4, s1, v4
	v_cmp_lt_i32_e32 vcc_lo, -1, v0
	v_cmp_gt_i32_e64 s0, s19, v0
	s_delay_alu instid0(VALU_DEP_1) | instskip(NEXT) | instid1(SALU_CYCLE_1)
	s_and_b32 s13, vcc_lo, s0
	s_and_saveexec_b32 s0, s13
	s_cbranch_execz .LBB0_5
; %bb.4:
	v_ashrrev_i32_e32 v5, 31, v4
	s_delay_alu instid0(VALU_DEP_1) | instskip(SKIP_1) | instid1(VALU_DEP_1)
	v_lshlrev_b64 v[5:6], 2, v[4:5]
	s_waitcnt lgkmcnt(0)
	v_add_co_u32 v7, vcc_lo, s4, v5
	s_delay_alu instid0(VALU_DEP_2)
	v_add_co_ci_u32_e32 v8, vcc_lo, s5, v6, vcc_lo
	v_add_co_u32 v5, vcc_lo, s6, v5
	v_add_co_ci_u32_e32 v6, vcc_lo, s7, v6, vcc_lo
	global_load_b32 v0, v[7:8], off
	global_load_b32 v5, v[5:6], off
	v_lshlrev_b32_e32 v6, 2, v3
	s_delay_alu instid0(VALU_DEP_1)
	v_lshl_add_u32 v6, v10, 6, v6
	s_waitcnt vmcnt(0)
	ds_store_2addr_stride64_b32 v6, v5, v0 offset0:4 offset1:28
.LBB0_5:
	s_or_b32 exec_lo, exec_lo, s0
	v_add_nc_u32_e32 v0, 28, v11
	v_add_nc_u32_e32 v4, s1, v4
	s_delay_alu instid0(VALU_DEP_2) | instskip(SKIP_1) | instid1(VALU_DEP_1)
	v_cmp_lt_i32_e32 vcc_lo, -1, v0
	v_cmp_gt_i32_e64 s0, s19, v0
	s_and_b32 s13, vcc_lo, s0
	s_delay_alu instid0(SALU_CYCLE_1)
	s_and_saveexec_b32 s0, s13
	s_cbranch_execz .LBB0_7
; %bb.6:
	v_ashrrev_i32_e32 v5, 31, v4
	s_delay_alu instid0(VALU_DEP_1) | instskip(SKIP_1) | instid1(VALU_DEP_1)
	v_lshlrev_b64 v[5:6], 2, v[4:5]
	s_waitcnt lgkmcnt(0)
	v_add_co_u32 v7, vcc_lo, s4, v5
	s_delay_alu instid0(VALU_DEP_2)
	v_add_co_ci_u32_e32 v8, vcc_lo, s5, v6, vcc_lo
	v_add_co_u32 v5, vcc_lo, s6, v5
	v_add_co_ci_u32_e32 v6, vcc_lo, s7, v6, vcc_lo
	global_load_b32 v0, v[7:8], off
	global_load_b32 v5, v[5:6], off
	v_lshlrev_b32_e32 v6, 2, v3
	s_delay_alu instid0(VALU_DEP_1)
	v_lshl_add_u32 v6, v10, 6, v6
	s_waitcnt vmcnt(0)
	ds_store_2addr_stride64_b32 v6, v5, v0 offset0:8 offset1:32
.LBB0_7:
	s_or_b32 exec_lo, exec_lo, s0
	v_add_nc_u32_e32 v0, 44, v11
	v_add_nc_u32_e32 v4, s1, v4
	s_delay_alu instid0(VALU_DEP_2) | instskip(SKIP_1) | instid1(VALU_DEP_1)
	v_cmp_lt_i32_e32 vcc_lo, -1, v0
	v_cmp_gt_i32_e64 s0, s19, v0
	s_and_b32 s13, vcc_lo, s0
	s_delay_alu instid0(SALU_CYCLE_1)
	;; [unrolled: 28-line block ×3, first 2 shown]
	s_and_saveexec_b32 s0, s13
	s_cbranch_execz .LBB0_11
; %bb.10:
	v_ashrrev_i32_e32 v5, 31, v4
	s_delay_alu instid0(VALU_DEP_1) | instskip(SKIP_1) | instid1(VALU_DEP_1)
	v_lshlrev_b64 v[5:6], 2, v[4:5]
	s_waitcnt lgkmcnt(0)
	v_add_co_u32 v7, vcc_lo, s4, v5
	s_delay_alu instid0(VALU_DEP_2)
	v_add_co_ci_u32_e32 v8, vcc_lo, s5, v6, vcc_lo
	v_add_co_u32 v5, vcc_lo, s6, v5
	v_add_co_ci_u32_e32 v6, vcc_lo, s7, v6, vcc_lo
	global_load_b32 v0, v[7:8], off
	global_load_b32 v5, v[5:6], off
	v_lshlrev_b32_e32 v6, 2, v3
	s_delay_alu instid0(VALU_DEP_1)
	v_lshl_add_u32 v6, v10, 6, v6
	s_waitcnt vmcnt(0)
	ds_store_2addr_stride64_b32 v6, v5, v0 offset0:16 offset1:40
.LBB0_11:
	s_or_b32 exec_lo, exec_lo, s0
	v_add_nc_u32_e32 v0, 0x4c, v11
	s_delay_alu instid0(VALU_DEP_1) | instskip(SKIP_1) | instid1(VALU_DEP_1)
	v_cmp_lt_i32_e32 vcc_lo, -1, v0
	v_cmp_gt_i32_e64 s0, s19, v0
	s_and_b32 s0, vcc_lo, s0
	s_delay_alu instid0(SALU_CYCLE_1)
	s_and_b32 exec_lo, exec_lo, s0
	s_cbranch_execz .LBB0_13
; %bb.12:
	v_add_nc_u32_e32 v4, s1, v4
	s_delay_alu instid0(VALU_DEP_1) | instskip(NEXT) | instid1(VALU_DEP_1)
	v_ashrrev_i32_e32 v5, 31, v4
	v_lshlrev_b64 v[4:5], 2, v[4:5]
	s_waitcnt lgkmcnt(0)
	s_delay_alu instid0(VALU_DEP_1) | instskip(NEXT) | instid1(VALU_DEP_2)
	v_add_co_u32 v6, vcc_lo, s4, v4
	v_add_co_ci_u32_e32 v7, vcc_lo, s5, v5, vcc_lo
	v_add_co_u32 v4, vcc_lo, s6, v4
	v_add_co_ci_u32_e32 v5, vcc_lo, s7, v5, vcc_lo
	global_load_b32 v0, v[6:7], off
	global_load_b32 v4, v[4:5], off
	v_lshlrev_b32_e32 v5, 2, v3
	s_delay_alu instid0(VALU_DEP_1)
	v_lshl_add_u32 v5, v10, 6, v5
	s_waitcnt vmcnt(0)
	ds_store_2addr_stride64_b32 v5, v4, v0 offset0:20 offset1:44
.LBB0_13:
	s_or_b32 exec_lo, exec_lo, s12
	v_lshlrev_b32_e32 v4, 1, v10
	v_and_b32_e32 v13, 1, v3
	v_lshlrev_b32_e32 v12, 2, v3
	s_waitcnt lgkmcnt(0)
	s_barrier
	buffer_gl0_inv
	v_sub_nc_u32_e32 v0, v4, v13
	v_or_b32_e32 v14, 1, v4
	s_add_i32 s12, s19, -1
	s_delay_alu instid0(VALU_DEP_2) | instskip(NEXT) | instid1(VALU_DEP_2)
	v_lshl_add_u32 v0, v0, 6, v12
	v_sub_nc_u32_e32 v15, v14, v13
	s_delay_alu instid0(VALU_DEP_2) | instskip(NEXT) | instid1(VALU_DEP_2)
	v_add_nc_u32_e32 v5, 64, v0
	v_add3_u32 v16, s15, -4, v15
	v_add_nc_u32_e32 v13, 0x1800, v0
	ds_load_2addr_stride64_b32 v[8:9], v5 offset0:16 offset1:24
	ds_load_2addr_stride64_b32 v[6:7], v5 offset1:8
	ds_load_2addr_stride64_b32 v[4:5], v5 offset0:32 offset1:40
	v_cmp_lt_i32_e32 vcc_lo, -1, v16
	s_waitcnt lgkmcnt(2)
	v_mov_b32_e32 v14, v9
	s_and_saveexec_b32 s4, vcc_lo
	s_cbranch_execz .LBB0_17
; %bb.14:
	v_cmp_gt_i32_e64 s0, s12, v16
	v_cmp_gt_u32_e64 s1, 0x5f, v15
	s_delay_alu instid0(VALU_DEP_1) | instskip(NEXT) | instid1(SALU_CYCLE_1)
	s_and_b32 s1, s1, s0
	s_and_saveexec_b32 s0, s1
	s_cbranch_execz .LBB0_16
; %bb.15:
	ds_load_b32 v14, v13 offset:128
	ds_load_b32 v17, v0 offset:128
	s_waitcnt lgkmcnt(3)
	v_mul_f32_e32 v19, s17, v6
	s_waitcnt lgkmcnt(1)
	v_mul_f32_e32 v18, s17, v14
	;; [unrolled: 2-line block ×3, first 2 shown]
	v_mul_f32_e32 v17, s17, v17
	v_fma_f32 v19, v14, s16, -v19
	v_fmac_f32_e32 v18, s16, v6
	s_delay_alu instid0(VALU_DEP_4) | instskip(NEXT) | instid1(VALU_DEP_4)
	v_fmac_f32_e32 v20, s17, v9
	v_fma_f32 v14, v9, s16, -v17
	ds_store_b32 v13, v19 offset:128
	ds_store_b32 v0, v20 offset:128
	v_mov_b32_e32 v6, v18
.LBB0_16:
	s_or_b32 exec_lo, exec_lo, s0
.LBB0_17:
	s_delay_alu instid0(SALU_CYCLE_1) | instskip(SKIP_2) | instid1(VALU_DEP_1)
	s_or_b32 exec_lo, exec_lo, s4
	v_add_nc_u32_e32 v9, 32, v16
	v_cmp_lt_i32_e64 s0, 0xffffffdf, v16
	s_and_saveexec_b32 s5, s0
	s_cbranch_execz .LBB0_21
; %bb.18:
	s_delay_alu instid0(VALU_DEP_2) | instskip(SKIP_1) | instid1(VALU_DEP_1)
	v_cmp_gt_i32_e64 s1, s12, v9
	v_cmp_gt_u32_e64 s4, 63, v15
	s_and_b32 s4, s4, s1
	s_delay_alu instid0(SALU_CYCLE_1)
	s_and_saveexec_b32 s1, s4
	s_cbranch_execz .LBB0_20
; %bb.19:
	ds_load_b32 v17, v13 offset:2176
	ds_load_b32 v18, v0 offset:2176
	s_waitcnt lgkmcnt(1)
	v_dual_mul_f32 v20, s17, v7 :: v_dual_mul_f32 v19, s17, v17
	s_waitcnt lgkmcnt(0)
	v_mul_f32_e32 v21, s16, v18
	v_mul_f32_e32 v18, s17, v18
	s_delay_alu instid0(VALU_DEP_3) | instskip(SKIP_1) | instid1(VALU_DEP_4)
	v_fma_f32 v17, v17, s16, -v20
	v_fmac_f32_e32 v19, s16, v7
	v_fmac_f32_e32 v21, s17, v4
	s_delay_alu instid0(VALU_DEP_4)
	v_fma_f32 v4, v4, s16, -v18
	ds_store_b32 v13, v17 offset:2176
	ds_store_b32 v0, v21 offset:2176
	v_mov_b32_e32 v7, v19
.LBB0_20:
	s_or_b32 exec_lo, exec_lo, s1
.LBB0_21:
	s_delay_alu instid0(SALU_CYCLE_1) | instskip(SKIP_2) | instid1(VALU_DEP_1)
	s_or_b32 exec_lo, exec_lo, s5
	v_add_nc_u32_e32 v17, 64, v16
	v_cmp_lt_i32_e64 s1, 0xffffffbf, v16
	s_and_saveexec_b32 s6, s1
	s_cbranch_execz .LBB0_25
; %bb.22:
	s_delay_alu instid0(VALU_DEP_2) | instskip(SKIP_1) | instid1(VALU_DEP_1)
	v_cmp_gt_i32_e64 s4, s12, v17
	v_cmp_gt_u32_e64 s5, 31, v15
	s_and_b32 s5, s5, s4
	s_delay_alu instid0(SALU_CYCLE_1)
	s_and_saveexec_b32 s4, s5
	s_cbranch_execz .LBB0_24
; %bb.23:
	ds_load_b32 v18, v13 offset:4224
	ds_load_b32 v19, v0 offset:4224
	s_waitcnt lgkmcnt(1)
	v_dual_mul_f32 v21, s17, v8 :: v_dual_mul_f32 v20, s17, v18
	s_waitcnt lgkmcnt(0)
	v_mul_f32_e32 v22, s16, v19
	v_mul_f32_e32 v19, s17, v19
	s_delay_alu instid0(VALU_DEP_3) | instskip(SKIP_1) | instid1(VALU_DEP_4)
	v_fma_f32 v18, v18, s16, -v21
	v_fmac_f32_e32 v20, s16, v8
	v_fmac_f32_e32 v22, s17, v5
	s_delay_alu instid0(VALU_DEP_4)
	v_fma_f32 v5, v5, s16, -v19
	ds_store_b32 v13, v18 offset:4224
	ds_store_b32 v0, v22 offset:4224
	v_mov_b32_e32 v8, v20
.LBB0_24:
	s_or_b32 exec_lo, exec_lo, s4
.LBB0_25:
	s_delay_alu instid0(SALU_CYCLE_1)
	s_or_b32 exec_lo, exec_lo, s6
	s_add_i32 s4, s18, -1
	v_cmp_gt_u32_e64 s5, 15, v3
	v_cmp_gt_i32_e64 s4, s4, v2
	s_waitcnt lgkmcnt(0)
	s_barrier
	buffer_gl0_inv
	s_and_b32 s4, s5, s4
	s_delay_alu instid0(SALU_CYCLE_1) | instskip(NEXT) | instid1(SALU_CYCLE_1)
	s_and_b32 s13, s3, s4
	s_and_saveexec_b32 s3, s13
	s_cbranch_execnz .LBB0_32
; %bb.26:
	s_or_b32 exec_lo, exec_lo, s3
	s_and_saveexec_b32 s3, s13
	s_cbranch_execnz .LBB0_33
.LBB0_27:
	s_or_b32 exec_lo, exec_lo, s3
	s_and_saveexec_b32 s3, s13
	s_cbranch_execz .LBB0_29
.LBB0_28:
	ds_load_b32 v18, v13 offset:4164
	ds_load_b32 v19, v0 offset:4164
	s_waitcnt lgkmcnt(1)
	v_dual_mul_f32 v21, s17, v8 :: v_dual_mul_f32 v20, s17, v18
	s_waitcnt lgkmcnt(0)
	v_mul_f32_e32 v22, s16, v19
	v_mul_f32_e32 v19, s17, v19
	s_delay_alu instid0(VALU_DEP_3) | instskip(SKIP_1) | instid1(VALU_DEP_4)
	v_fma_f32 v18, v18, s16, -v21
	v_fmac_f32_e32 v20, s16, v8
	v_fmac_f32_e32 v22, s17, v5
	s_delay_alu instid0(VALU_DEP_4)
	v_fma_f32 v5, v5, s16, -v19
	ds_store_b32 v13, v18 offset:4164
	ds_store_b32 v0, v22 offset:4164
	v_mov_b32_e32 v8, v20
.LBB0_29:
	s_or_b32 exec_lo, exec_lo, s3
	v_add_nc_u32_e32 v18, -1, v15
	v_cmp_lt_i32_e64 s3, 0, v16
	s_waitcnt lgkmcnt(0)
	s_barrier
	buffer_gl0_inv
	s_and_saveexec_b32 s6, s3
	s_cbranch_execnz .LBB0_34
; %bb.30:
	s_or_b32 exec_lo, exec_lo, s6
	v_cmp_lt_i32_e64 s4, 0xffffffe0, v16
	s_delay_alu instid0(VALU_DEP_1)
	s_and_saveexec_b32 s7, s4
	s_cbranch_execnz .LBB0_37
.LBB0_31:
	s_or_b32 exec_lo, exec_lo, s7
	v_cmp_lt_i32_e64 s5, 0xffffffc0, v16
	s_delay_alu instid0(VALU_DEP_1)
	s_and_saveexec_b32 s14, s5
	s_cbranch_execnz .LBB0_40
	s_branch .LBB0_43
.LBB0_32:
	ds_load_b32 v18, v13 offset:68
	ds_load_b32 v19, v0 offset:68
	v_mul_f32_e32 v21, s17, v6
	s_waitcnt lgkmcnt(1)
	v_mul_f32_e32 v20, s17, v18
	s_waitcnt lgkmcnt(0)
	v_mul_f32_e32 v22, s16, v19
	v_mul_f32_e32 v19, s17, v19
	v_fma_f32 v18, v18, s16, -v21
	v_fmac_f32_e32 v20, s16, v6
	s_delay_alu instid0(VALU_DEP_4) | instskip(NEXT) | instid1(VALU_DEP_4)
	v_fmac_f32_e32 v22, s17, v14
	v_fma_f32 v14, v14, s16, -v19
	ds_store_b32 v13, v18 offset:68
	ds_store_b32 v0, v22 offset:68
	v_mov_b32_e32 v6, v20
	s_or_b32 exec_lo, exec_lo, s3
	s_and_saveexec_b32 s3, s13
	s_cbranch_execz .LBB0_27
.LBB0_33:
	ds_load_b32 v18, v13 offset:2116
	ds_load_b32 v19, v0 offset:2116
	s_waitcnt lgkmcnt(1)
	v_dual_mul_f32 v21, s17, v7 :: v_dual_mul_f32 v20, s17, v18
	s_delay_alu instid0(VALU_DEP_1) | instskip(NEXT) | instid1(VALU_DEP_2)
	v_fma_f32 v18, v18, s16, -v21
	v_fmac_f32_e32 v20, s16, v7
	s_waitcnt lgkmcnt(0)
	s_delay_alu instid0(VALU_DEP_1) | instskip(NEXT) | instid1(VALU_DEP_1)
	v_dual_mul_f32 v22, s16, v19 :: v_dual_mov_b32 v7, v20
	v_dual_mul_f32 v19, s17, v19 :: v_dual_fmac_f32 v22, s17, v4
	ds_store_b32 v13, v18 offset:2116
	ds_store_b32 v0, v22 offset:2116
	v_fma_f32 v4, v4, s16, -v19
	s_or_b32 exec_lo, exec_lo, s3
	s_and_saveexec_b32 s3, s13
	s_cbranch_execnz .LBB0_28
	s_branch .LBB0_29
.LBB0_34:
	v_cmp_gt_i32_e64 s4, s19, v16
	v_cmp_gt_u32_e64 s5, 0x5f, v18
	s_delay_alu instid0(VALU_DEP_1) | instskip(NEXT) | instid1(SALU_CYCLE_1)
	s_and_b32 s5, s4, s5
	s_and_saveexec_b32 s4, s5
	s_cbranch_execz .LBB0_36
; %bb.35:
	ds_load_b32 v19, v13
	ds_load_b32 v20, v0
	s_waitcnt lgkmcnt(1)
	v_dual_mul_f32 v22, s17, v6 :: v_dual_mul_f32 v21, s17, v19
	s_delay_alu instid0(VALU_DEP_1) | instskip(NEXT) | instid1(VALU_DEP_2)
	v_fma_f32 v19, v19, s16, -v22
	v_fmac_f32_e32 v21, s16, v6
	s_waitcnt lgkmcnt(0)
	s_delay_alu instid0(VALU_DEP_1) | instskip(NEXT) | instid1(VALU_DEP_1)
	v_dual_mul_f32 v23, s16, v20 :: v_dual_mov_b32 v6, v21
	v_dual_mul_f32 v20, s17, v20 :: v_dual_fmac_f32 v23, s17, v14
	ds_store_b32 v13, v19
	ds_store_b32 v0, v23
	v_fma_f32 v14, v14, s16, -v20
.LBB0_36:
	s_or_b32 exec_lo, exec_lo, s4
	s_delay_alu instid0(SALU_CYCLE_1) | instskip(SKIP_1) | instid1(VALU_DEP_1)
	s_or_b32 exec_lo, exec_lo, s6
	v_cmp_lt_i32_e64 s4, 0xffffffe0, v16
	s_and_saveexec_b32 s7, s4
	s_cbranch_execz .LBB0_31
.LBB0_37:
	v_cmp_gt_i32_e64 s5, s19, v9
	v_cmp_gt_u32_e64 s6, 64, v15
	s_delay_alu instid0(VALU_DEP_1) | instskip(NEXT) | instid1(SALU_CYCLE_1)
	s_and_b32 s6, s5, s6
	s_and_saveexec_b32 s5, s6
	s_cbranch_execz .LBB0_39
; %bb.38:
	ds_load_b32 v19, v13 offset:2048
	ds_load_b32 v20, v0 offset:2048
	v_mul_f32_e32 v22, s17, v7
	s_waitcnt lgkmcnt(1)
	v_mul_f32_e32 v21, s17, v19
	s_waitcnt lgkmcnt(0)
	v_mul_f32_e32 v23, s16, v20
	v_mul_f32_e32 v20, s17, v20
	v_fma_f32 v19, v19, s16, -v22
	v_fmac_f32_e32 v21, s16, v7
	s_delay_alu instid0(VALU_DEP_4) | instskip(NEXT) | instid1(VALU_DEP_4)
	v_fmac_f32_e32 v23, s17, v4
	v_fma_f32 v4, v4, s16, -v20
	ds_store_b32 v13, v19 offset:2048
	ds_store_b32 v0, v23 offset:2048
	v_mov_b32_e32 v7, v21
.LBB0_39:
	s_or_b32 exec_lo, exec_lo, s5
	s_delay_alu instid0(SALU_CYCLE_1) | instskip(SKIP_1) | instid1(VALU_DEP_1)
	s_or_b32 exec_lo, exec_lo, s7
	v_cmp_lt_i32_e64 s5, 0xffffffc0, v16
	s_and_saveexec_b32 s14, s5
	s_cbranch_execz .LBB0_43
.LBB0_40:
	v_cmp_gt_i32_e64 s6, s19, v17
	v_cmp_gt_u32_e64 s7, 32, v15
	s_delay_alu instid0(VALU_DEP_1) | instskip(NEXT) | instid1(SALU_CYCLE_1)
	s_and_b32 s7, s6, s7
	s_and_saveexec_b32 s6, s7
	s_cbranch_execz .LBB0_42
; %bb.41:
	ds_load_b32 v19, v13 offset:4096
	ds_load_b32 v20, v0 offset:4096
	s_waitcnt lgkmcnt(1)
	v_dual_mul_f32 v22, s17, v8 :: v_dual_mul_f32 v21, s17, v19
	s_delay_alu instid0(VALU_DEP_1) | instskip(NEXT) | instid1(VALU_DEP_2)
	v_fma_f32 v19, v19, s16, -v22
	v_fmac_f32_e32 v21, s16, v8
	s_waitcnt lgkmcnt(0)
	s_delay_alu instid0(VALU_DEP_1) | instskip(NEXT) | instid1(VALU_DEP_1)
	v_dual_mul_f32 v23, s16, v20 :: v_dual_mov_b32 v8, v21
	v_dual_mul_f32 v20, s17, v20 :: v_dual_fmac_f32 v23, s17, v5
	ds_store_b32 v13, v19 offset:4096
	ds_store_b32 v0, v23 offset:4096
	v_fma_f32 v5, v5, s16, -v20
.LBB0_42:
	s_or_b32 exec_lo, exec_lo, s6
.LBB0_43:
	s_delay_alu instid0(SALU_CYCLE_1)
	s_or_b32 exec_lo, exec_lo, s14
	v_add_nc_u32_e32 v19, -1, v3
	v_cmp_lt_i32_e64 s6, 0, v2
	s_waitcnt lgkmcnt(0)
	s_barrier
	buffer_gl0_inv
	v_cmp_gt_u32_e64 s7, 15, v19
	s_delay_alu instid0(VALU_DEP_1) | instskip(NEXT) | instid1(SALU_CYCLE_1)
	s_and_b32 s6, s7, s6
	s_and_b32 s2, s6, s2
	s_delay_alu instid0(SALU_CYCLE_1)
	s_and_saveexec_b32 s6, s2
	s_cbranch_execnz .LBB0_54
; %bb.44:
	s_or_b32 exec_lo, exec_lo, s6
	s_and_saveexec_b32 s6, s2
	s_cbranch_execnz .LBB0_55
.LBB0_45:
	s_or_b32 exec_lo, exec_lo, s6
	s_and_saveexec_b32 s6, s2
	s_cbranch_execz .LBB0_47
.LBB0_46:
	ds_load_b32 v2, v13 offset:4156
	ds_load_b32 v19, v0 offset:4156
	s_waitcnt lgkmcnt(1)
	v_dual_mul_f32 v21, s17, v8 :: v_dual_mul_f32 v20, s17, v2
	s_waitcnt lgkmcnt(0)
	v_mul_f32_e32 v22, s16, v19
	v_mul_f32_e32 v19, s17, v19
	s_delay_alu instid0(VALU_DEP_3) | instskip(SKIP_1) | instid1(VALU_DEP_4)
	v_fma_f32 v2, v2, s16, -v21
	v_fmac_f32_e32 v20, s16, v8
	v_fmac_f32_e32 v22, s17, v5
	s_delay_alu instid0(VALU_DEP_4)
	v_fma_f32 v5, v5, s16, -v19
	ds_store_b32 v13, v2 offset:4156
	ds_store_b32 v0, v22 offset:4156
	v_mov_b32_e32 v8, v20
.LBB0_47:
	s_or_b32 exec_lo, exec_lo, s6
	s_waitcnt lgkmcnt(0)
	s_barrier
	buffer_gl0_inv
	s_and_saveexec_b32 s6, s2
	s_cbranch_execnz .LBB0_56
; %bb.48:
	s_or_b32 exec_lo, exec_lo, s6
	s_and_saveexec_b32 s6, s2
	s_cbranch_execnz .LBB0_57
.LBB0_49:
	s_or_b32 exec_lo, exec_lo, s6
	s_and_saveexec_b32 s6, s2
	s_cbranch_execz .LBB0_51
.LBB0_50:
	ds_load_b32 v2, v13 offset:4156
	ds_load_b32 v19, v0 offset:4156
	s_waitcnt lgkmcnt(1)
	v_dual_mul_f32 v21, s17, v8 :: v_dual_mul_f32 v20, s17, v2
	s_waitcnt lgkmcnt(0)
	v_mul_f32_e32 v22, s16, v19
	v_mul_f32_e32 v19, s17, v19
	s_delay_alu instid0(VALU_DEP_3) | instskip(SKIP_1) | instid1(VALU_DEP_4)
	v_fma_f32 v2, v2, s16, -v21
	v_fmac_f32_e32 v20, s16, v8
	v_fmac_f32_e32 v22, s17, v5
	s_delay_alu instid0(VALU_DEP_4)
	v_fma_f32 v5, v5, s16, -v19
	ds_store_b32 v13, v2 offset:4156
	ds_store_b32 v0, v22 offset:4156
	v_mov_b32_e32 v8, v20
.LBB0_51:
	s_or_b32 exec_lo, exec_lo, s6
	s_waitcnt lgkmcnt(0)
	s_barrier
	buffer_gl0_inv
	s_and_saveexec_b32 s6, s3
	s_cbranch_execnz .LBB0_58
; %bb.52:
	s_or_b32 exec_lo, exec_lo, s6
	s_and_saveexec_b32 s6, s4
	s_cbranch_execnz .LBB0_61
.LBB0_53:
	s_or_b32 exec_lo, exec_lo, s6
	s_and_saveexec_b32 s4, s5
	s_cbranch_execnz .LBB0_64
	s_branch .LBB0_67
.LBB0_54:
	ds_load_b32 v2, v13 offset:60
	ds_load_b32 v19, v0 offset:60
	v_mul_f32_e32 v21, s17, v6
	s_waitcnt lgkmcnt(1)
	v_mul_f32_e32 v20, s17, v2
	s_waitcnt lgkmcnt(0)
	v_mul_f32_e32 v22, s16, v19
	v_mul_f32_e32 v19, s17, v19
	v_fma_f32 v2, v2, s16, -v21
	v_fmac_f32_e32 v20, s16, v6
	s_delay_alu instid0(VALU_DEP_4) | instskip(NEXT) | instid1(VALU_DEP_4)
	v_fmac_f32_e32 v22, s17, v14
	v_fma_f32 v14, v14, s16, -v19
	ds_store_b32 v13, v2 offset:60
	ds_store_b32 v0, v22 offset:60
	v_mov_b32_e32 v6, v20
	s_or_b32 exec_lo, exec_lo, s6
	s_and_saveexec_b32 s6, s2
	s_cbranch_execz .LBB0_45
.LBB0_55:
	ds_load_b32 v2, v13 offset:2108
	ds_load_b32 v19, v0 offset:2108
	s_waitcnt lgkmcnt(1)
	v_dual_mul_f32 v21, s17, v7 :: v_dual_mul_f32 v20, s17, v2
	s_delay_alu instid0(VALU_DEP_1) | instskip(NEXT) | instid1(VALU_DEP_2)
	v_fma_f32 v2, v2, s16, -v21
	v_fmac_f32_e32 v20, s16, v7
	s_waitcnt lgkmcnt(0)
	s_delay_alu instid0(VALU_DEP_1) | instskip(NEXT) | instid1(VALU_DEP_1)
	v_dual_mul_f32 v22, s16, v19 :: v_dual_mov_b32 v7, v20
	v_dual_mul_f32 v19, s17, v19 :: v_dual_fmac_f32 v22, s17, v4
	ds_store_b32 v13, v2 offset:2108
	ds_store_b32 v0, v22 offset:2108
	v_fma_f32 v4, v4, s16, -v19
	s_or_b32 exec_lo, exec_lo, s6
	s_and_saveexec_b32 s6, s2
	s_cbranch_execnz .LBB0_46
	s_branch .LBB0_47
.LBB0_56:
	ds_load_b32 v2, v13 offset:60
	ds_load_b32 v19, v0 offset:60
	v_mul_f32_e32 v21, s17, v6
	s_waitcnt lgkmcnt(1)
	v_mul_f32_e32 v20, s17, v2
	s_waitcnt lgkmcnt(0)
	v_mul_f32_e32 v22, s16, v19
	v_mul_f32_e32 v19, s17, v19
	v_fma_f32 v2, v2, s16, -v21
	v_fmac_f32_e32 v20, s16, v6
	s_delay_alu instid0(VALU_DEP_4) | instskip(NEXT) | instid1(VALU_DEP_4)
	v_fmac_f32_e32 v22, s17, v14
	v_fma_f32 v14, v14, s16, -v19
	ds_store_b32 v13, v2 offset:60
	ds_store_b32 v0, v22 offset:60
	v_mov_b32_e32 v6, v20
	s_or_b32 exec_lo, exec_lo, s6
	s_and_saveexec_b32 s6, s2
	s_cbranch_execz .LBB0_49
.LBB0_57:
	ds_load_b32 v2, v13 offset:2108
	ds_load_b32 v19, v0 offset:2108
	s_waitcnt lgkmcnt(1)
	v_dual_mul_f32 v21, s17, v7 :: v_dual_mul_f32 v20, s17, v2
	s_delay_alu instid0(VALU_DEP_1) | instskip(NEXT) | instid1(VALU_DEP_2)
	v_fma_f32 v2, v2, s16, -v21
	v_fmac_f32_e32 v20, s16, v7
	s_waitcnt lgkmcnt(0)
	s_delay_alu instid0(VALU_DEP_1) | instskip(NEXT) | instid1(VALU_DEP_1)
	v_dual_mul_f32 v22, s16, v19 :: v_dual_mov_b32 v7, v20
	v_dual_mul_f32 v19, s17, v19 :: v_dual_fmac_f32 v22, s17, v4
	ds_store_b32 v13, v2 offset:2108
	ds_store_b32 v0, v22 offset:2108
	v_fma_f32 v4, v4, s16, -v19
	s_or_b32 exec_lo, exec_lo, s6
	s_and_saveexec_b32 s6, s2
	s_cbranch_execnz .LBB0_50
	s_branch .LBB0_51
.LBB0_58:
	v_cmp_gt_i32_e64 s2, s19, v16
	v_cmp_gt_u32_e64 s3, 0x5f, v18
	s_delay_alu instid0(VALU_DEP_1) | instskip(NEXT) | instid1(SALU_CYCLE_1)
	s_and_b32 s3, s2, s3
	s_and_saveexec_b32 s2, s3
	s_cbranch_execz .LBB0_60
; %bb.59:
	ds_load_b32 v2, v13
	ds_load_b32 v18, v0
	v_mul_f32_e32 v20, s17, v6
	s_waitcnt lgkmcnt(1)
	v_mul_f32_e32 v19, s17, v2
	s_delay_alu instid0(VALU_DEP_2) | instskip(NEXT) | instid1(VALU_DEP_2)
	v_fma_f32 v2, v2, s16, -v20
	v_fmac_f32_e32 v19, s16, v6
	s_waitcnt lgkmcnt(0)
	v_mul_f32_e32 v21, s16, v18
	v_mul_f32_e32 v18, s17, v18
	s_delay_alu instid0(VALU_DEP_2) | instskip(NEXT) | instid1(VALU_DEP_2)
	v_dual_mov_b32 v6, v19 :: v_dual_fmac_f32 v21, s17, v14
	v_fma_f32 v14, v14, s16, -v18
	ds_store_b32 v13, v2
	ds_store_b32 v0, v21
.LBB0_60:
	s_or_b32 exec_lo, exec_lo, s2
	s_delay_alu instid0(SALU_CYCLE_1)
	s_or_b32 exec_lo, exec_lo, s6
	s_and_saveexec_b32 s6, s4
	s_cbranch_execz .LBB0_53
.LBB0_61:
	v_cmp_gt_i32_e64 s2, s19, v9
	v_cmp_gt_u32_e64 s3, 64, v15
	s_delay_alu instid0(VALU_DEP_1) | instskip(NEXT) | instid1(SALU_CYCLE_1)
	s_and_b32 s3, s2, s3
	s_and_saveexec_b32 s2, s3
	s_cbranch_execz .LBB0_63
; %bb.62:
	ds_load_b32 v2, v13 offset:2048
	ds_load_b32 v18, v0 offset:2048
	s_waitcnt lgkmcnt(1)
	v_dual_mul_f32 v20, s17, v7 :: v_dual_mul_f32 v19, s17, v2
	s_waitcnt lgkmcnt(0)
	v_mul_f32_e32 v21, s16, v18
	v_mul_f32_e32 v18, s17, v18
	s_delay_alu instid0(VALU_DEP_3) | instskip(SKIP_1) | instid1(VALU_DEP_4)
	v_fma_f32 v2, v2, s16, -v20
	v_fmac_f32_e32 v19, s16, v7
	v_fmac_f32_e32 v21, s17, v4
	s_delay_alu instid0(VALU_DEP_4)
	v_fma_f32 v4, v4, s16, -v18
	ds_store_b32 v13, v2 offset:2048
	ds_store_b32 v0, v21 offset:2048
	v_mov_b32_e32 v7, v19
.LBB0_63:
	s_or_b32 exec_lo, exec_lo, s2
	s_delay_alu instid0(SALU_CYCLE_1)
	s_or_b32 exec_lo, exec_lo, s6
	s_and_saveexec_b32 s4, s5
	s_cbranch_execz .LBB0_67
.LBB0_64:
	v_cmp_gt_i32_e64 s2, s19, v17
	v_cmp_gt_u32_e64 s3, 32, v15
	s_delay_alu instid0(VALU_DEP_1) | instskip(NEXT) | instid1(SALU_CYCLE_1)
	s_and_b32 s3, s2, s3
	s_and_saveexec_b32 s2, s3
	s_cbranch_execz .LBB0_66
; %bb.65:
	ds_load_b32 v2, v13 offset:4096
	ds_load_b32 v18, v0 offset:4096
	s_waitcnt lgkmcnt(1)
	v_dual_mul_f32 v20, s17, v8 :: v_dual_mul_f32 v19, s17, v2
	s_delay_alu instid0(VALU_DEP_1) | instskip(NEXT) | instid1(VALU_DEP_2)
	v_fma_f32 v2, v2, s16, -v20
	v_fmac_f32_e32 v19, s16, v8
	s_waitcnt lgkmcnt(0)
	s_delay_alu instid0(VALU_DEP_1) | instskip(NEXT) | instid1(VALU_DEP_1)
	v_dual_mul_f32 v21, s16, v18 :: v_dual_mov_b32 v8, v19
	v_dual_mul_f32 v18, s17, v18 :: v_dual_fmac_f32 v21, s17, v5
	ds_store_b32 v13, v2 offset:4096
	ds_store_b32 v0, v21 offset:4096
	v_fma_f32 v5, v5, s16, -v18
.LBB0_66:
	s_or_b32 exec_lo, exec_lo, s2
.LBB0_67:
	s_delay_alu instid0(SALU_CYCLE_1)
	s_or_b32 exec_lo, exec_lo, s4
	s_waitcnt lgkmcnt(0)
	s_barrier
	buffer_gl0_inv
	s_and_saveexec_b32 s2, s13
	s_cbranch_execnz .LBB0_74
; %bb.68:
	s_or_b32 exec_lo, exec_lo, s2
	s_and_saveexec_b32 s2, s13
	s_cbranch_execnz .LBB0_75
.LBB0_69:
	s_or_b32 exec_lo, exec_lo, s2
	s_and_saveexec_b32 s2, s13
	s_cbranch_execz .LBB0_71
.LBB0_70:
	ds_load_b32 v2, v13 offset:4164
	ds_load_b32 v18, v0 offset:4164
	s_waitcnt lgkmcnt(1)
	v_dual_mul_f32 v20, s17, v8 :: v_dual_mul_f32 v19, s17, v2
	s_delay_alu instid0(VALU_DEP_1) | instskip(NEXT) | instid1(VALU_DEP_2)
	v_fma_f32 v2, v2, s16, -v20
	v_fmac_f32_e32 v19, s16, v8
	s_waitcnt lgkmcnt(0)
	s_delay_alu instid0(VALU_DEP_1) | instskip(NEXT) | instid1(VALU_DEP_1)
	v_dual_mul_f32 v21, s16, v18 :: v_dual_mov_b32 v8, v19
	v_dual_mul_f32 v18, s17, v18 :: v_dual_fmac_f32 v21, s17, v5
	ds_store_b32 v13, v2 offset:4164
	ds_store_b32 v0, v21 offset:4164
	v_fma_f32 v5, v5, s16, -v18
.LBB0_71:
	s_or_b32 exec_lo, exec_lo, s2
	s_waitcnt lgkmcnt(0)
	s_barrier
	buffer_gl0_inv
	s_and_saveexec_b32 s3, vcc_lo
	s_cbranch_execnz .LBB0_76
; %bb.72:
	s_or_b32 exec_lo, exec_lo, s3
	s_and_saveexec_b32 s2, s0
	s_cbranch_execnz .LBB0_79
.LBB0_73:
	s_or_b32 exec_lo, exec_lo, s2
	s_and_saveexec_b32 s2, s1
	s_cbranch_execnz .LBB0_82
	s_branch .LBB0_85
.LBB0_74:
	ds_load_b32 v2, v13 offset:68
	ds_load_b32 v18, v0 offset:68
	v_mul_f32_e32 v20, s17, v6
	s_waitcnt lgkmcnt(1)
	v_mul_f32_e32 v19, s17, v2
	s_delay_alu instid0(VALU_DEP_2) | instskip(NEXT) | instid1(VALU_DEP_2)
	v_fma_f32 v2, v2, s16, -v20
	v_fmac_f32_e32 v19, s16, v6
	s_waitcnt lgkmcnt(0)
	v_mul_f32_e32 v21, s16, v18
	v_mul_f32_e32 v18, s17, v18
	s_delay_alu instid0(VALU_DEP_2) | instskip(NEXT) | instid1(VALU_DEP_2)
	v_dual_mov_b32 v6, v19 :: v_dual_fmac_f32 v21, s17, v14
	v_fma_f32 v14, v14, s16, -v18
	ds_store_b32 v13, v2 offset:68
	ds_store_b32 v0, v21 offset:68
	s_or_b32 exec_lo, exec_lo, s2
	s_and_saveexec_b32 s2, s13
	s_cbranch_execz .LBB0_69
.LBB0_75:
	ds_load_b32 v2, v13 offset:2116
	ds_load_b32 v18, v0 offset:2116
	s_waitcnt lgkmcnt(1)
	v_dual_mul_f32 v20, s17, v7 :: v_dual_mul_f32 v19, s17, v2
	s_waitcnt lgkmcnt(0)
	v_mul_f32_e32 v21, s16, v18
	v_mul_f32_e32 v18, s17, v18
	s_delay_alu instid0(VALU_DEP_3) | instskip(SKIP_1) | instid1(VALU_DEP_4)
	v_fma_f32 v2, v2, s16, -v20
	v_fmac_f32_e32 v19, s16, v7
	v_fmac_f32_e32 v21, s17, v4
	s_delay_alu instid0(VALU_DEP_4)
	v_fma_f32 v4, v4, s16, -v18
	ds_store_b32 v13, v2 offset:2116
	ds_store_b32 v0, v21 offset:2116
	v_mov_b32_e32 v7, v19
	s_or_b32 exec_lo, exec_lo, s2
	s_and_saveexec_b32 s2, s13
	s_cbranch_execnz .LBB0_70
	s_branch .LBB0_71
.LBB0_76:
	v_cmp_gt_i32_e32 vcc_lo, s12, v16
	v_cmp_gt_u32_e64 s2, 0x5f, v15
	s_delay_alu instid0(VALU_DEP_1) | instskip(NEXT) | instid1(SALU_CYCLE_1)
	s_and_b32 s4, s2, vcc_lo
	s_and_saveexec_b32 s2, s4
	s_cbranch_execz .LBB0_78
; %bb.77:
	ds_load_b32 v2, v13 offset:128
	ds_load_b32 v16, v0 offset:128
	v_mul_f32_e32 v19, s17, v6
	s_waitcnt lgkmcnt(1)
	v_mul_f32_e32 v18, s17, v2
	s_waitcnt lgkmcnt(0)
	v_mul_f32_e32 v20, s16, v16
	v_mul_f32_e32 v16, s17, v16
	v_fma_f32 v2, v2, s16, -v19
	v_fmac_f32_e32 v18, s16, v6
	s_delay_alu instid0(VALU_DEP_4) | instskip(NEXT) | instid1(VALU_DEP_4)
	v_fmac_f32_e32 v20, s17, v14
	v_fma_f32 v14, v14, s16, -v16
	ds_store_b32 v13, v2 offset:128
	ds_store_b32 v0, v20 offset:128
	v_mov_b32_e32 v6, v18
.LBB0_78:
	s_or_b32 exec_lo, exec_lo, s2
	s_delay_alu instid0(SALU_CYCLE_1)
	s_or_b32 exec_lo, exec_lo, s3
	s_and_saveexec_b32 s2, s0
	s_cbranch_execz .LBB0_73
.LBB0_79:
	v_cmp_gt_i32_e32 vcc_lo, s12, v9
	v_cmp_gt_u32_e64 s0, 63, v15
	s_delay_alu instid0(VALU_DEP_1) | instskip(NEXT) | instid1(SALU_CYCLE_1)
	s_and_b32 s3, s0, vcc_lo
	s_and_saveexec_b32 s0, s3
	s_cbranch_execz .LBB0_81
; %bb.80:
	ds_load_b32 v2, v13 offset:2176
	ds_load_b32 v9, v0 offset:2176
	v_mul_f32_e32 v18, s17, v7
	s_waitcnt lgkmcnt(0)
	v_dual_mul_f32 v16, s17, v2 :: v_dual_mul_f32 v19, s16, v9
	v_mul_f32_e32 v9, s17, v9
	s_delay_alu instid0(VALU_DEP_3) | instskip(NEXT) | instid1(VALU_DEP_3)
	v_fma_f32 v2, v2, s16, -v18
	v_dual_fmac_f32 v16, s16, v7 :: v_dual_fmac_f32 v19, s17, v4
	s_delay_alu instid0(VALU_DEP_3)
	v_fma_f32 v4, v4, s16, -v9
	ds_store_b32 v13, v2 offset:2176
	ds_store_b32 v0, v19 offset:2176
	v_mov_b32_e32 v7, v16
.LBB0_81:
	s_or_b32 exec_lo, exec_lo, s0
	s_delay_alu instid0(SALU_CYCLE_1)
	s_or_b32 exec_lo, exec_lo, s2
	s_and_saveexec_b32 s2, s1
	s_cbranch_execz .LBB0_85
.LBB0_82:
	v_cmp_gt_i32_e32 vcc_lo, s12, v17
	v_cmp_gt_u32_e64 s0, 31, v15
	s_delay_alu instid0(VALU_DEP_1) | instskip(NEXT) | instid1(SALU_CYCLE_1)
	s_and_b32 s1, s0, vcc_lo
	s_and_saveexec_b32 s0, s1
	s_cbranch_execz .LBB0_84
; %bb.83:
	ds_load_b32 v2, v13 offset:4224
	ds_load_b32 v9, v0 offset:4224
	s_waitcnt lgkmcnt(1)
	v_dual_mul_f32 v16, s17, v8 :: v_dual_mul_f32 v15, s17, v2
	s_delay_alu instid0(VALU_DEP_1) | instskip(NEXT) | instid1(VALU_DEP_2)
	v_fma_f32 v2, v2, s16, -v16
	v_fmac_f32_e32 v15, s16, v8
	s_waitcnt lgkmcnt(0)
	v_mul_f32_e32 v17, s16, v9
	s_delay_alu instid0(VALU_DEP_2) | instskip(NEXT) | instid1(VALU_DEP_2)
	v_dual_mul_f32 v9, s17, v9 :: v_dual_mov_b32 v8, v15
	v_fmac_f32_e32 v17, s17, v5
	s_delay_alu instid0(VALU_DEP_2)
	v_fma_f32 v5, v5, s16, -v9
	ds_store_b32 v13, v2 offset:4224
	ds_store_b32 v0, v17 offset:4224
.LBB0_84:
	s_or_b32 exec_lo, exec_lo, s0
.LBB0_85:
	s_delay_alu instid0(SALU_CYCLE_1)
	s_or_b32 exec_lo, exec_lo, s2
	v_cmp_gt_u32_e32 vcc_lo, 10, v3
	v_cmp_gt_i32_e64 s0, s18, v1
	v_add_nc_u32_e32 v2, 64, v13
	v_add_nc_u32_e32 v9, 64, v0
	s_waitcnt lgkmcnt(0)
	s_barrier
	s_and_b32 s0, vcc_lo, s0
	buffer_gl0_inv
	ds_store_2addr_stride64_b32 v2, v14, v4 offset1:8
	ds_store_2addr_stride64_b32 v9, v6, v7 offset1:8
	ds_store_b32 v13, v5 offset:4160
	ds_store_b32 v0, v8 offset:4160
	s_waitcnt lgkmcnt(0)
	s_barrier
	buffer_gl0_inv
	s_and_saveexec_b32 s1, s0
	s_cbranch_execz .LBB0_98
; %bb.86:
	v_mad_u64_u32 v[2:3], null, v11, s18, v[1:2]
	v_cmp_gt_u32_e32 vcc_lo, 0x58, v10
	v_cmp_gt_i32_e64 s0, s19, v11
	s_delay_alu instid0(VALU_DEP_1) | instskip(NEXT) | instid1(SALU_CYCLE_1)
	s_and_b32 s1, vcc_lo, s0
	s_and_saveexec_b32 s0, s1
	s_cbranch_execz .LBB0_88
; %bb.87:
	v_lshl_add_u32 v0, v10, 6, v12
	s_delay_alu instid0(VALU_DEP_4) | instskip(NEXT) | instid1(VALU_DEP_2)
	v_ashrrev_i32_e32 v3, 31, v2
	v_add_nc_u32_e32 v0, 12, v0
	s_delay_alu instid0(VALU_DEP_2)
	v_lshlrev_b64 v[3:4], 2, v[2:3]
	ds_load_2addr_stride64_b32 v[0:1], v0 offset0:1 offset1:25
	v_add_co_u32 v5, vcc_lo, s8, v3
	v_add_co_ci_u32_e32 v6, vcc_lo, s9, v4, vcc_lo
	v_add_co_u32 v3, vcc_lo, s10, v3
	v_add_co_ci_u32_e32 v4, vcc_lo, s11, v4, vcc_lo
	s_waitcnt lgkmcnt(0)
	global_store_b32 v[5:6], v1, off
	global_store_b32 v[3:4], v0, off
.LBB0_88:
	s_or_b32 exec_lo, exec_lo, s0
	v_add_nc_u32_e32 v0, 16, v11
	s_lshl_b32 s1, s18, 4
	v_cmp_gt_u32_e32 vcc_lo, 0x48, v10
	s_delay_alu instid0(VALU_DEP_2) | instskip(SKIP_1) | instid1(VALU_DEP_2)
	v_cmp_gt_i32_e64 s0, s19, v0
	v_add_nc_u32_e32 v0, s1, v2
	s_and_b32 s2, vcc_lo, s0
	s_delay_alu instid0(SALU_CYCLE_1)
	s_and_saveexec_b32 s0, s2
	s_cbranch_execz .LBB0_90
; %bb.89:
	v_lshl_add_u32 v1, v10, 6, v12
	s_delay_alu instid0(VALU_DEP_1) | instskip(SKIP_3) | instid1(VALU_DEP_1)
	v_add_nc_u32_e32 v2, 12, v1
	v_ashrrev_i32_e32 v1, 31, v0
	ds_load_2addr_stride64_b32 v[2:3], v2 offset0:5 offset1:29
	v_lshlrev_b64 v[4:5], 2, v[0:1]
	v_add_co_u32 v6, vcc_lo, s8, v4
	s_delay_alu instid0(VALU_DEP_2)
	v_add_co_ci_u32_e32 v7, vcc_lo, s9, v5, vcc_lo
	v_add_co_u32 v4, vcc_lo, s10, v4
	v_add_co_ci_u32_e32 v5, vcc_lo, s11, v5, vcc_lo
	s_waitcnt lgkmcnt(0)
	global_store_b32 v[6:7], v3, off
	global_store_b32 v[4:5], v2, off
.LBB0_90:
	s_or_b32 exec_lo, exec_lo, s0
	v_add_nc_u32_e32 v1, 32, v11
	v_cmp_gt_u32_e32 vcc_lo, 56, v10
	v_add_nc_u32_e32 v0, s1, v0
	s_delay_alu instid0(VALU_DEP_3) | instskip(NEXT) | instid1(VALU_DEP_1)
	v_cmp_gt_i32_e64 s0, s19, v1
	s_and_b32 s2, vcc_lo, s0
	s_delay_alu instid0(SALU_CYCLE_1)
	s_and_saveexec_b32 s0, s2
	s_cbranch_execz .LBB0_92
; %bb.91:
	v_lshl_add_u32 v1, v10, 6, v12
	s_delay_alu instid0(VALU_DEP_1) | instskip(SKIP_3) | instid1(VALU_DEP_1)
	v_add_nc_u32_e32 v2, 12, v1
	v_ashrrev_i32_e32 v1, 31, v0
	ds_load_2addr_stride64_b32 v[2:3], v2 offset0:9 offset1:33
	v_lshlrev_b64 v[4:5], 2, v[0:1]
	v_add_co_u32 v6, vcc_lo, s8, v4
	s_delay_alu instid0(VALU_DEP_2)
	v_add_co_ci_u32_e32 v7, vcc_lo, s9, v5, vcc_lo
	v_add_co_u32 v4, vcc_lo, s10, v4
	v_add_co_ci_u32_e32 v5, vcc_lo, s11, v5, vcc_lo
	s_waitcnt lgkmcnt(0)
	global_store_b32 v[6:7], v3, off
	global_store_b32 v[4:5], v2, off
.LBB0_92:
	s_or_b32 exec_lo, exec_lo, s0
	v_add_nc_u32_e32 v1, 48, v11
	v_cmp_gt_u32_e32 vcc_lo, 40, v10
	v_add_nc_u32_e32 v0, s1, v0
	s_delay_alu instid0(VALU_DEP_3) | instskip(NEXT) | instid1(VALU_DEP_1)
	v_cmp_gt_i32_e64 s0, s19, v1
	s_and_b32 s2, vcc_lo, s0
	s_delay_alu instid0(SALU_CYCLE_1)
	s_and_saveexec_b32 s0, s2
	s_cbranch_execz .LBB0_94
; %bb.93:
	v_lshl_add_u32 v1, v10, 6, v12
	s_delay_alu instid0(VALU_DEP_1) | instskip(SKIP_3) | instid1(VALU_DEP_1)
	v_add_nc_u32_e32 v2, 12, v1
	v_ashrrev_i32_e32 v1, 31, v0
	ds_load_2addr_stride64_b32 v[2:3], v2 offset0:13 offset1:37
	v_lshlrev_b64 v[4:5], 2, v[0:1]
	v_add_co_u32 v6, vcc_lo, s8, v4
	s_delay_alu instid0(VALU_DEP_2)
	v_add_co_ci_u32_e32 v7, vcc_lo, s9, v5, vcc_lo
	v_add_co_u32 v4, vcc_lo, s10, v4
	v_add_co_ci_u32_e32 v5, vcc_lo, s11, v5, vcc_lo
	s_waitcnt lgkmcnt(0)
	global_store_b32 v[6:7], v3, off
	global_store_b32 v[4:5], v2, off
.LBB0_94:
	s_or_b32 exec_lo, exec_lo, s0
	v_add_nc_u32_e32 v1, 64, v11
	v_cmp_gt_u32_e32 vcc_lo, 24, v10
	v_add_nc_u32_e32 v0, s1, v0
	s_delay_alu instid0(VALU_DEP_3) | instskip(NEXT) | instid1(VALU_DEP_1)
	v_cmp_gt_i32_e64 s0, s19, v1
	s_and_b32 s2, vcc_lo, s0
	s_delay_alu instid0(SALU_CYCLE_1)
	s_and_saveexec_b32 s0, s2
	s_cbranch_execz .LBB0_96
; %bb.95:
	v_lshl_add_u32 v1, v10, 6, v12
	s_delay_alu instid0(VALU_DEP_1) | instskip(SKIP_3) | instid1(VALU_DEP_1)
	v_add_nc_u32_e32 v2, 12, v1
	v_ashrrev_i32_e32 v1, 31, v0
	ds_load_2addr_stride64_b32 v[2:3], v2 offset0:17 offset1:41
	v_lshlrev_b64 v[4:5], 2, v[0:1]
	v_add_co_u32 v6, vcc_lo, s8, v4
	s_delay_alu instid0(VALU_DEP_2)
	v_add_co_ci_u32_e32 v7, vcc_lo, s9, v5, vcc_lo
	v_add_co_u32 v4, vcc_lo, s10, v4
	v_add_co_ci_u32_e32 v5, vcc_lo, s11, v5, vcc_lo
	s_waitcnt lgkmcnt(0)
	global_store_b32 v[6:7], v3, off
	global_store_b32 v[4:5], v2, off
.LBB0_96:
	s_or_b32 exec_lo, exec_lo, s0
	v_add_nc_u32_e32 v1, 0x50, v11
	v_cmp_gt_u32_e32 vcc_lo, 8, v10
	s_delay_alu instid0(VALU_DEP_2) | instskip(NEXT) | instid1(VALU_DEP_1)
	v_cmp_gt_i32_e64 s0, s19, v1
	s_and_b32 s0, vcc_lo, s0
	s_delay_alu instid0(SALU_CYCLE_1)
	s_and_b32 exec_lo, exec_lo, s0
	s_cbranch_execz .LBB0_98
; %bb.97:
	v_lshl_add_u32 v1, v10, 6, v12
	v_add_nc_u32_e32 v0, s1, v0
	s_delay_alu instid0(VALU_DEP_2) | instskip(NEXT) | instid1(VALU_DEP_2)
	v_add_nc_u32_e32 v2, 12, v1
	v_ashrrev_i32_e32 v1, 31, v0
	ds_load_2addr_stride64_b32 v[2:3], v2 offset0:21 offset1:45
	v_lshlrev_b64 v[0:1], 2, v[0:1]
	s_delay_alu instid0(VALU_DEP_1) | instskip(NEXT) | instid1(VALU_DEP_2)
	v_add_co_u32 v4, vcc_lo, s8, v0
	v_add_co_ci_u32_e32 v5, vcc_lo, s9, v1, vcc_lo
	v_add_co_u32 v0, vcc_lo, s10, v0
	v_add_co_ci_u32_e32 v1, vcc_lo, s11, v1, vcc_lo
	s_waitcnt lgkmcnt(0)
	global_store_b32 v[4:5], v3, off
	global_store_b32 v[0:1], v2, off
.LBB0_98:
	s_nop 0
	s_sendmsg sendmsg(MSG_DEALLOC_VGPRS)
	s_endpgm
	.section	.rodata,"a",@progbits
	.p2align	6, 0x0
	.amdhsa_kernel _Z6kernelIfLi1ELi16ELi96ELi3ELi4ELi16EEvT_S0_iiPKS0_S2_PS0_S3_
		.amdhsa_group_segment_fixed_size 12288
		.amdhsa_private_segment_fixed_size 0
		.amdhsa_kernarg_size 48
		.amdhsa_user_sgpr_count 14
		.amdhsa_user_sgpr_dispatch_ptr 0
		.amdhsa_user_sgpr_queue_ptr 0
		.amdhsa_user_sgpr_kernarg_segment_ptr 1
		.amdhsa_user_sgpr_dispatch_id 0
		.amdhsa_user_sgpr_private_segment_size 0
		.amdhsa_wavefront_size32 1
		.amdhsa_uses_dynamic_stack 0
		.amdhsa_enable_private_segment 0
		.amdhsa_system_sgpr_workgroup_id_x 1
		.amdhsa_system_sgpr_workgroup_id_y 1
		.amdhsa_system_sgpr_workgroup_id_z 0
		.amdhsa_system_sgpr_workgroup_info 0
		.amdhsa_system_vgpr_workitem_id 1
		.amdhsa_next_free_vgpr 24
		.amdhsa_next_free_sgpr 20
		.amdhsa_reserve_vcc 1
		.amdhsa_float_round_mode_32 0
		.amdhsa_float_round_mode_16_64 0
		.amdhsa_float_denorm_mode_32 3
		.amdhsa_float_denorm_mode_16_64 3
		.amdhsa_dx10_clamp 1
		.amdhsa_ieee_mode 1
		.amdhsa_fp16_overflow 0
		.amdhsa_workgroup_processor_mode 1
		.amdhsa_memory_ordered 1
		.amdhsa_forward_progress 0
		.amdhsa_shared_vgpr_count 0
		.amdhsa_exception_fp_ieee_invalid_op 0
		.amdhsa_exception_fp_denorm_src 0
		.amdhsa_exception_fp_ieee_div_zero 0
		.amdhsa_exception_fp_ieee_overflow 0
		.amdhsa_exception_fp_ieee_underflow 0
		.amdhsa_exception_fp_ieee_inexact 0
		.amdhsa_exception_int_div_zero 0
	.end_amdhsa_kernel
	.section	.text._Z6kernelIfLi1ELi16ELi96ELi3ELi4ELi16EEvT_S0_iiPKS0_S2_PS0_S3_,"axG",@progbits,_Z6kernelIfLi1ELi16ELi96ELi3ELi4ELi16EEvT_S0_iiPKS0_S2_PS0_S3_,comdat
.Lfunc_end0:
	.size	_Z6kernelIfLi1ELi16ELi96ELi3ELi4ELi16EEvT_S0_iiPKS0_S2_PS0_S3_, .Lfunc_end0-_Z6kernelIfLi1ELi16ELi96ELi3ELi4ELi16EEvT_S0_iiPKS0_S2_PS0_S3_
                                        ; -- End function
	.section	.AMDGPU.csdata,"",@progbits
; Kernel info:
; codeLenInByte = 5380
; NumSgprs: 22
; NumVgprs: 24
; ScratchSize: 0
; MemoryBound: 0
; FloatMode: 240
; IeeeMode: 1
; LDSByteSize: 12288 bytes/workgroup (compile time only)
; SGPRBlocks: 2
; VGPRBlocks: 2
; NumSGPRsForWavesPerEU: 22
; NumVGPRsForWavesPerEU: 24
; Occupancy: 16
; WaveLimiterHint : 0
; COMPUTE_PGM_RSRC2:SCRATCH_EN: 0
; COMPUTE_PGM_RSRC2:USER_SGPR: 14
; COMPUTE_PGM_RSRC2:TRAP_HANDLER: 0
; COMPUTE_PGM_RSRC2:TGID_X_EN: 1
; COMPUTE_PGM_RSRC2:TGID_Y_EN: 1
; COMPUTE_PGM_RSRC2:TGID_Z_EN: 0
; COMPUTE_PGM_RSRC2:TIDIG_COMP_CNT: 1
	.section	.text._Z6kernelIdLi1ELi16ELi32ELi3ELi4ELi16EEvT_S0_iiPKS0_S2_PS0_S3_,"axG",@progbits,_Z6kernelIdLi1ELi16ELi32ELi3ELi4ELi16EEvT_S0_iiPKS0_S2_PS0_S3_,comdat
	.protected	_Z6kernelIdLi1ELi16ELi32ELi3ELi4ELi16EEvT_S0_iiPKS0_S2_PS0_S3_ ; -- Begin function _Z6kernelIdLi1ELi16ELi32ELi3ELi4ELi16EEvT_S0_iiPKS0_S2_PS0_S3_
	.globl	_Z6kernelIdLi1ELi16ELi32ELi3ELi4ELi16EEvT_S0_iiPKS0_S2_PS0_S3_
	.p2align	8
	.type	_Z6kernelIdLi1ELi16ELi32ELi3ELi4ELi16EEvT_S0_iiPKS0_S2_PS0_S3_,@function
_Z6kernelIdLi1ELi16ELi32ELi3ELi4ELi16EEvT_S0_iiPKS0_S2_PS0_S3_: ; @_Z6kernelIdLi1ELi16ELi32ELi3ELi4ELi16EEvT_S0_iiPKS0_S2_PS0_S3_
; %bb.0:
	s_clause 0x1
	s_load_b64 s[6:7], s[0:1], 0x10
	s_load_b128 s[8:11], s[0:1], 0x28
	v_and_b32_e32 v6, 0x3ff, v0
	s_mul_i32 s5, s15, 24
	s_delay_alu instid0(VALU_DEP_1) | instskip(SKIP_1) | instid1(VALU_DEP_1)
	v_mad_u64_u32 v[4:5], null, s14, 10, v[6:7]
	v_bfe_u32 v7, v0, 10, 10
	v_add_nc_u32_e32 v8, s5, v7
	s_delay_alu instid0(VALU_DEP_3) | instskip(NEXT) | instid1(VALU_DEP_1)
	v_add_nc_u32_e32 v5, -3, v4
	v_cmp_lt_i32_e32 vcc_lo, -1, v5
	s_waitcnt lgkmcnt(0)
	v_cmp_gt_i32_e64 s2, s6, v5
	s_delay_alu instid0(VALU_DEP_1) | instskip(NEXT) | instid1(SALU_CYCLE_1)
	s_and_b32 s3, vcc_lo, s2
	s_and_saveexec_b32 s16, s3
	s_cbranch_execz .LBB1_5
; %bb.1:
	s_load_b128 s[12:15], s[0:1], 0x18
	v_add_nc_u32_e32 v2, -4, v8
	s_delay_alu instid0(VALU_DEP_1) | instskip(SKIP_2) | instid1(VALU_DEP_1)
	v_mad_u64_u32 v[0:1], null, v2, s6, v[5:6]
	v_cmp_lt_i32_e64 s3, -1, v2
	v_cmp_gt_i32_e64 s4, s7, v2
	s_and_b32 s3, s3, s4
	s_delay_alu instid0(SALU_CYCLE_1)
	s_and_saveexec_b32 s4, s3
	s_cbranch_execz .LBB1_3
; %bb.2:
	s_delay_alu instid0(VALU_DEP_3) | instskip(SKIP_1) | instid1(VALU_DEP_2)
	v_ashrrev_i32_e32 v1, 31, v0
	v_lshlrev_b32_e32 v3, 3, v6
	v_lshlrev_b64 v[1:2], 3, v[0:1]
	s_delay_alu instid0(VALU_DEP_2) | instskip(SKIP_1) | instid1(VALU_DEP_2)
	v_lshl_add_u32 v3, v7, 7, v3
	s_waitcnt lgkmcnt(0)
	v_add_co_u32 v9, s3, s12, v1
	s_delay_alu instid0(VALU_DEP_1) | instskip(SKIP_1) | instid1(VALU_DEP_1)
	v_add_co_ci_u32_e64 v10, s3, s13, v2, s3
	v_add_co_u32 v1, s3, s14, v1
	v_add_co_ci_u32_e64 v2, s3, s15, v2, s3
	global_load_b64 v[9:10], v[9:10], off
	global_load_b64 v[1:2], v[1:2], off
	s_waitcnt vmcnt(0)
	ds_store_2addr_stride64_b64 v3, v[1:2], v[9:10] offset1:8
.LBB1_3:
	s_or_b32 exec_lo, exec_lo, s4
	v_add_nc_u32_e32 v1, 12, v8
	s_delay_alu instid0(VALU_DEP_1) | instskip(SKIP_1) | instid1(VALU_DEP_1)
	v_cmp_lt_i32_e64 s3, -1, v1
	v_cmp_gt_i32_e64 s4, s7, v1
	s_and_b32 s3, s3, s4
	s_delay_alu instid0(SALU_CYCLE_1)
	s_and_b32 exec_lo, exec_lo, s3
	s_cbranch_execz .LBB1_5
; %bb.4:
	v_lshl_add_u32 v0, s6, 4, v0
	v_lshlrev_b32_e32 v9, 3, v6
	s_delay_alu instid0(VALU_DEP_2) | instskip(NEXT) | instid1(VALU_DEP_2)
	v_ashrrev_i32_e32 v1, 31, v0
	v_lshl_add_u32 v9, v7, 7, v9
	s_delay_alu instid0(VALU_DEP_2) | instskip(SKIP_1) | instid1(VALU_DEP_1)
	v_lshlrev_b64 v[0:1], 3, v[0:1]
	s_waitcnt lgkmcnt(0)
	v_add_co_u32 v2, s3, s12, v0
	s_delay_alu instid0(VALU_DEP_1) | instskip(SKIP_1) | instid1(VALU_DEP_1)
	v_add_co_ci_u32_e64 v3, s3, s13, v1, s3
	v_add_co_u32 v0, s3, s14, v0
	v_add_co_ci_u32_e64 v1, s3, s15, v1, s3
	global_load_b64 v[2:3], v[2:3], off
	global_load_b64 v[0:1], v[0:1], off
	s_waitcnt vmcnt(0)
	ds_store_2addr_stride64_b64 v9, v[0:1], v[2:3] offset0:4 offset1:12
.LBB1_5:
	s_or_b32 exec_lo, exec_lo, s16
	v_lshlrev_b32_e32 v0, 1, v7
	v_and_b32_e32 v11, 1, v6
	v_lshlrev_b32_e32 v9, 3, v6
	s_waitcnt lgkmcnt(0)
	s_load_b128 s[12:15], s[0:1], 0x0
	s_waitcnt lgkmcnt(0)
	s_barrier
	v_sub_nc_u32_e32 v1, v0, v11
	buffer_gl0_inv
	v_or_b32_e32 v12, 1, v0
	v_lshl_add_u32 v10, v1, 7, v9
	s_delay_alu instid0(VALU_DEP_2) | instskip(NEXT) | instid1(VALU_DEP_2)
	v_sub_nc_u32_e32 v12, v12, v11
	v_add_nc_u32_e32 v1, 0x80, v10
	v_add_nc_u32_e32 v11, 0x1000, v10
	s_delay_alu instid0(VALU_DEP_3) | instskip(SKIP_2) | instid1(VALU_DEP_1)
	v_add3_u32 v13, s5, -4, v12
	ds_load_2addr_stride64_b64 v[0:3], v1 offset1:8
	v_cmp_lt_i32_e64 s0, -1, v13
	s_and_saveexec_b32 s4, s0
	s_cbranch_execz .LBB1_9
; %bb.6:
	s_add_i32 s1, s7, -1
	v_cmp_gt_u32_e64 s3, 31, v12
	v_cmp_gt_i32_e64 s1, s1, v13
	s_delay_alu instid0(VALU_DEP_1) | instskip(NEXT) | instid1(SALU_CYCLE_1)
	s_and_b32 s3, s3, s1
	s_and_saveexec_b32 s1, s3
	s_cbranch_execz .LBB1_8
; %bb.7:
	ds_load_b64 v[14:15], v10 offset:256
	ds_load_b64 v[16:17], v11 offset:256
	s_waitcnt lgkmcnt(2)
	v_mul_f64 v[18:19], v[0:1], s[14:15]
	s_waitcnt lgkmcnt(1)
	v_mul_f64 v[20:21], v[14:15], s[12:13]
	v_mul_f64 v[14:15], v[14:15], s[14:15]
	s_waitcnt lgkmcnt(0)
	v_mul_f64 v[22:23], v[16:17], s[14:15]
	s_delay_alu instid0(VALU_DEP_4) | instskip(NEXT) | instid1(VALU_DEP_4)
	v_fma_f64 v[16:17], v[16:17], s[12:13], -v[18:19]
	v_fma_f64 v[18:19], v[2:3], s[14:15], v[20:21]
	s_delay_alu instid0(VALU_DEP_4) | instskip(NEXT) | instid1(VALU_DEP_4)
	v_fma_f64 v[2:3], v[2:3], s[12:13], -v[14:15]
	v_fma_f64 v[0:1], v[0:1], s[12:13], v[22:23]
	ds_store_b64 v11, v[16:17] offset:256
	ds_store_b64 v10, v[18:19] offset:256
.LBB1_8:
	s_or_b32 exec_lo, exec_lo, s1
.LBB1_9:
	s_delay_alu instid0(SALU_CYCLE_1)
	s_or_b32 exec_lo, exec_lo, s4
	s_waitcnt lgkmcnt(0)
	s_barrier
	buffer_gl0_inv
	s_and_saveexec_b32 s4, vcc_lo
	s_cbranch_execz .LBB1_13
; %bb.10:
	s_add_i32 s1, s6, -1
	v_cmp_gt_u32_e64 s3, 15, v6
	v_cmp_gt_i32_e64 s1, s1, v5
	s_delay_alu instid0(VALU_DEP_1) | instskip(NEXT) | instid1(SALU_CYCLE_1)
	s_and_b32 s3, s3, s1
	s_and_saveexec_b32 s1, s3
	s_cbranch_execz .LBB1_12
; %bb.11:
	ds_load_b64 v[14:15], v10 offset:136
	ds_load_b64 v[16:17], v11 offset:136
	v_mul_f64 v[18:19], v[0:1], s[14:15]
	s_waitcnt lgkmcnt(1)
	v_mul_f64 v[20:21], v[14:15], s[12:13]
	v_mul_f64 v[14:15], v[14:15], s[14:15]
	s_waitcnt lgkmcnt(0)
	v_mul_f64 v[22:23], v[16:17], s[14:15]
	s_delay_alu instid0(VALU_DEP_4) | instskip(NEXT) | instid1(VALU_DEP_4)
	v_fma_f64 v[16:17], v[16:17], s[12:13], -v[18:19]
	v_fma_f64 v[18:19], v[2:3], s[14:15], v[20:21]
	s_delay_alu instid0(VALU_DEP_4) | instskip(NEXT) | instid1(VALU_DEP_4)
	v_fma_f64 v[2:3], v[2:3], s[12:13], -v[14:15]
	v_fma_f64 v[0:1], v[0:1], s[12:13], v[22:23]
	ds_store_b64 v11, v[16:17] offset:136
	ds_store_b64 v10, v[18:19] offset:136
.LBB1_12:
	s_or_b32 exec_lo, exec_lo, s1
.LBB1_13:
	s_delay_alu instid0(SALU_CYCLE_1)
	s_or_b32 exec_lo, exec_lo, s4
	v_add_nc_u32_e32 v14, -1, v12
	v_cmp_lt_i32_e64 s1, 0, v13
	s_waitcnt lgkmcnt(0)
	s_barrier
	buffer_gl0_inv
	s_and_saveexec_b32 s5, s1
	s_cbranch_execz .LBB1_17
; %bb.14:
	v_cmp_gt_i32_e64 s3, s7, v13
	v_cmp_gt_u32_e64 s4, 31, v14
	s_delay_alu instid0(VALU_DEP_1) | instskip(NEXT) | instid1(SALU_CYCLE_1)
	s_and_b32 s4, s4, s3
	s_and_saveexec_b32 s3, s4
	s_cbranch_execz .LBB1_16
; %bb.15:
	ds_load_b64 v[15:16], v10
	ds_load_b64 v[17:18], v11
	v_mul_f64 v[19:20], v[0:1], s[14:15]
	s_waitcnt lgkmcnt(1)
	v_mul_f64 v[21:22], v[15:16], s[12:13]
	v_mul_f64 v[15:16], v[15:16], s[14:15]
	s_waitcnt lgkmcnt(0)
	v_mul_f64 v[23:24], v[17:18], s[14:15]
	s_delay_alu instid0(VALU_DEP_4) | instskip(NEXT) | instid1(VALU_DEP_4)
	v_fma_f64 v[17:18], v[17:18], s[12:13], -v[19:20]
	v_fma_f64 v[19:20], v[2:3], s[14:15], v[21:22]
	s_delay_alu instid0(VALU_DEP_4) | instskip(NEXT) | instid1(VALU_DEP_4)
	v_fma_f64 v[2:3], v[2:3], s[12:13], -v[15:16]
	v_fma_f64 v[0:1], v[0:1], s[12:13], v[23:24]
	ds_store_b64 v11, v[17:18]
	ds_store_b64 v10, v[19:20]
.LBB1_16:
	s_or_b32 exec_lo, exec_lo, s3
.LBB1_17:
	s_delay_alu instid0(SALU_CYCLE_1)
	s_or_b32 exec_lo, exec_lo, s5
	v_add_nc_u32_e32 v15, -1, v6
	v_cmp_lt_i32_e64 s3, 0, v5
	s_waitcnt lgkmcnt(0)
	s_barrier
	buffer_gl0_inv
	v_cmp_gt_u32_e64 s4, 15, v15
	s_delay_alu instid0(VALU_DEP_1) | instskip(NEXT) | instid1(SALU_CYCLE_1)
	s_and_b32 s3, s4, s3
	s_and_b32 s2, s3, s2
	s_delay_alu instid0(SALU_CYCLE_1)
	s_and_saveexec_b32 s3, s2
	s_cbranch_execz .LBB1_19
; %bb.18:
	ds_load_b64 v[15:16], v10 offset:120
	ds_load_b64 v[17:18], v11 offset:120
	v_mul_f64 v[19:20], v[0:1], s[14:15]
	s_waitcnt lgkmcnt(1)
	v_mul_f64 v[21:22], v[15:16], s[12:13]
	v_mul_f64 v[15:16], v[15:16], s[14:15]
	s_waitcnt lgkmcnt(0)
	v_mul_f64 v[23:24], v[17:18], s[14:15]
	s_delay_alu instid0(VALU_DEP_4) | instskip(NEXT) | instid1(VALU_DEP_4)
	v_fma_f64 v[17:18], v[17:18], s[12:13], -v[19:20]
	v_fma_f64 v[19:20], v[2:3], s[14:15], v[21:22]
	s_delay_alu instid0(VALU_DEP_4) | instskip(NEXT) | instid1(VALU_DEP_4)
	v_fma_f64 v[2:3], v[2:3], s[12:13], -v[15:16]
	v_fma_f64 v[0:1], v[0:1], s[12:13], v[23:24]
	ds_store_b64 v11, v[17:18] offset:120
	ds_store_b64 v10, v[19:20] offset:120
.LBB1_19:
	s_or_b32 exec_lo, exec_lo, s3
	s_waitcnt lgkmcnt(0)
	s_barrier
	buffer_gl0_inv
	s_and_saveexec_b32 s3, s2
	s_cbranch_execz .LBB1_21
; %bb.20:
	ds_load_b64 v[15:16], v10 offset:120
	ds_load_b64 v[17:18], v11 offset:120
	v_mul_f64 v[19:20], v[0:1], s[14:15]
	s_waitcnt lgkmcnt(1)
	v_mul_f64 v[21:22], v[15:16], s[12:13]
	v_mul_f64 v[15:16], v[15:16], s[14:15]
	s_waitcnt lgkmcnt(0)
	v_mul_f64 v[23:24], v[17:18], s[14:15]
	s_delay_alu instid0(VALU_DEP_4) | instskip(NEXT) | instid1(VALU_DEP_4)
	v_fma_f64 v[17:18], v[17:18], s[12:13], -v[19:20]
	v_fma_f64 v[19:20], v[2:3], s[14:15], v[21:22]
	s_delay_alu instid0(VALU_DEP_4) | instskip(NEXT) | instid1(VALU_DEP_4)
	v_fma_f64 v[2:3], v[2:3], s[12:13], -v[15:16]
	v_fma_f64 v[0:1], v[0:1], s[12:13], v[23:24]
	ds_store_b64 v11, v[17:18] offset:120
	ds_store_b64 v10, v[19:20] offset:120
.LBB1_21:
	s_or_b32 exec_lo, exec_lo, s3
	s_waitcnt lgkmcnt(0)
	s_barrier
	buffer_gl0_inv
	s_and_saveexec_b32 s3, s1
	s_cbranch_execz .LBB1_25
; %bb.22:
	v_cmp_gt_i32_e64 s1, s7, v13
	v_cmp_gt_u32_e64 s2, 31, v14
	s_delay_alu instid0(VALU_DEP_1) | instskip(NEXT) | instid1(SALU_CYCLE_1)
	s_and_b32 s2, s2, s1
	s_and_saveexec_b32 s1, s2
	s_cbranch_execz .LBB1_24
; %bb.23:
	ds_load_b64 v[14:15], v10
	ds_load_b64 v[16:17], v11
	v_mul_f64 v[18:19], v[0:1], s[14:15]
	s_waitcnt lgkmcnt(1)
	v_mul_f64 v[20:21], v[14:15], s[12:13]
	v_mul_f64 v[14:15], v[14:15], s[14:15]
	s_waitcnt lgkmcnt(0)
	v_mul_f64 v[22:23], v[16:17], s[14:15]
	s_delay_alu instid0(VALU_DEP_4) | instskip(NEXT) | instid1(VALU_DEP_4)
	v_fma_f64 v[16:17], v[16:17], s[12:13], -v[18:19]
	v_fma_f64 v[18:19], v[2:3], s[14:15], v[20:21]
	s_delay_alu instid0(VALU_DEP_4) | instskip(NEXT) | instid1(VALU_DEP_4)
	v_fma_f64 v[2:3], v[2:3], s[12:13], -v[14:15]
	v_fma_f64 v[0:1], v[0:1], s[12:13], v[22:23]
	ds_store_b64 v11, v[16:17]
	ds_store_b64 v10, v[18:19]
.LBB1_24:
	s_or_b32 exec_lo, exec_lo, s1
.LBB1_25:
	s_delay_alu instid0(SALU_CYCLE_1)
	s_or_b32 exec_lo, exec_lo, s3
	s_waitcnt lgkmcnt(0)
	s_barrier
	buffer_gl0_inv
	s_and_saveexec_b32 s2, vcc_lo
	s_cbranch_execz .LBB1_29
; %bb.26:
	s_add_i32 s1, s6, -1
	s_delay_alu instid0(SALU_CYCLE_1) | instskip(SKIP_1) | instid1(VALU_DEP_1)
	v_cmp_gt_i32_e32 vcc_lo, s1, v5
	v_cmp_gt_u32_e64 s1, 15, v6
	s_and_b32 s3, s1, vcc_lo
	s_delay_alu instid0(SALU_CYCLE_1)
	s_and_saveexec_b32 s1, s3
	s_cbranch_execz .LBB1_28
; %bb.27:
	ds_load_b64 v[14:15], v10 offset:136
	ds_load_b64 v[16:17], v11 offset:136
	v_mul_f64 v[18:19], v[0:1], s[14:15]
	s_waitcnt lgkmcnt(1)
	v_mul_f64 v[20:21], v[14:15], s[12:13]
	v_mul_f64 v[14:15], v[14:15], s[14:15]
	s_waitcnt lgkmcnt(0)
	v_mul_f64 v[22:23], v[16:17], s[14:15]
	s_delay_alu instid0(VALU_DEP_4) | instskip(NEXT) | instid1(VALU_DEP_4)
	v_fma_f64 v[16:17], v[16:17], s[12:13], -v[18:19]
	v_fma_f64 v[18:19], v[2:3], s[14:15], v[20:21]
	s_delay_alu instid0(VALU_DEP_4) | instskip(NEXT) | instid1(VALU_DEP_4)
	v_fma_f64 v[2:3], v[2:3], s[12:13], -v[14:15]
	v_fma_f64 v[0:1], v[0:1], s[12:13], v[22:23]
	ds_store_b64 v11, v[16:17] offset:136
	ds_store_b64 v10, v[18:19] offset:136
.LBB1_28:
	s_or_b32 exec_lo, exec_lo, s1
.LBB1_29:
	s_delay_alu instid0(SALU_CYCLE_1)
	s_or_b32 exec_lo, exec_lo, s2
	s_waitcnt lgkmcnt(0)
	s_barrier
	buffer_gl0_inv
	s_and_saveexec_b32 s1, s0
	s_cbranch_execz .LBB1_33
; %bb.30:
	s_add_i32 s0, s7, -1
	s_delay_alu instid0(SALU_CYCLE_1) | instskip(SKIP_1) | instid1(VALU_DEP_1)
	v_cmp_gt_i32_e32 vcc_lo, s0, v13
	v_cmp_gt_u32_e64 s0, 31, v12
	s_and_b32 s2, s0, vcc_lo
	s_delay_alu instid0(SALU_CYCLE_1)
	s_and_saveexec_b32 s0, s2
	s_cbranch_execz .LBB1_32
; %bb.31:
	ds_load_b64 v[12:13], v10 offset:256
	ds_load_b64 v[14:15], v11 offset:256
	v_mul_f64 v[16:17], v[0:1], s[14:15]
	s_waitcnt lgkmcnt(1)
	v_mul_f64 v[18:19], v[12:13], s[12:13]
	v_mul_f64 v[12:13], v[12:13], s[14:15]
	s_waitcnt lgkmcnt(0)
	v_mul_f64 v[20:21], v[14:15], s[14:15]
	s_delay_alu instid0(VALU_DEP_4) | instskip(NEXT) | instid1(VALU_DEP_4)
	v_fma_f64 v[14:15], v[14:15], s[12:13], -v[16:17]
	v_fma_f64 v[16:17], v[2:3], s[14:15], v[18:19]
	s_delay_alu instid0(VALU_DEP_4) | instskip(NEXT) | instid1(VALU_DEP_4)
	v_fma_f64 v[2:3], v[2:3], s[12:13], -v[12:13]
	v_fma_f64 v[0:1], v[0:1], s[12:13], v[20:21]
	ds_store_b64 v11, v[14:15] offset:256
	ds_store_b64 v10, v[16:17] offset:256
.LBB1_32:
	s_or_b32 exec_lo, exec_lo, s0
.LBB1_33:
	s_delay_alu instid0(SALU_CYCLE_1)
	s_or_b32 exec_lo, exec_lo, s1
	v_cmp_gt_u32_e32 vcc_lo, 10, v6
	v_cmp_gt_i32_e64 s0, s6, v4
	s_waitcnt lgkmcnt(0)
	s_barrier
	buffer_gl0_inv
	ds_store_b64 v11, v[2:3] offset:128
	ds_store_b64 v10, v[0:1] offset:128
	s_and_b32 s0, vcc_lo, s0
	s_waitcnt lgkmcnt(0)
	s_barrier
	buffer_gl0_inv
	s_and_saveexec_b32 s1, s0
	s_cbranch_execz .LBB1_38
; %bb.34:
	v_mad_u64_u32 v[0:1], null, v8, s6, v[4:5]
	v_cmp_gt_u32_e32 vcc_lo, 24, v7
	v_cmp_gt_i32_e64 s0, s7, v8
	s_delay_alu instid0(VALU_DEP_1) | instskip(NEXT) | instid1(SALU_CYCLE_1)
	s_and_b32 s1, vcc_lo, s0
	s_and_saveexec_b32 s0, s1
	s_cbranch_execz .LBB1_36
; %bb.35:
	v_lshl_add_u32 v1, v7, 7, v9
	s_delay_alu instid0(VALU_DEP_1) | instskip(SKIP_3) | instid1(VALU_DEP_1)
	v_add_nc_u32_e32 v2, 24, v1
	v_ashrrev_i32_e32 v1, 31, v0
	ds_load_2addr_stride64_b64 v[2:5], v2 offset0:1 offset1:9
	v_lshlrev_b64 v[10:11], 3, v[0:1]
	v_add_co_u32 v12, vcc_lo, s8, v10
	s_delay_alu instid0(VALU_DEP_2)
	v_add_co_ci_u32_e32 v13, vcc_lo, s9, v11, vcc_lo
	v_add_co_u32 v10, vcc_lo, s10, v10
	v_add_co_ci_u32_e32 v11, vcc_lo, s11, v11, vcc_lo
	s_waitcnt lgkmcnt(0)
	global_store_b64 v[12:13], v[4:5], off
	global_store_b64 v[10:11], v[2:3], off
.LBB1_36:
	s_or_b32 exec_lo, exec_lo, s0
	v_add_nc_u32_e32 v1, 16, v8
	v_cmp_gt_u32_e32 vcc_lo, 8, v7
	s_delay_alu instid0(VALU_DEP_2) | instskip(NEXT) | instid1(VALU_DEP_1)
	v_cmp_gt_i32_e64 s0, s7, v1
	s_and_b32 s0, vcc_lo, s0
	s_delay_alu instid0(SALU_CYCLE_1)
	s_and_b32 exec_lo, exec_lo, s0
	s_cbranch_execz .LBB1_38
; %bb.37:
	v_lshl_add_u32 v1, v7, 7, v9
	v_lshl_add_u32 v4, s6, 4, v0
	s_delay_alu instid0(VALU_DEP_2) | instskip(NEXT) | instid1(VALU_DEP_2)
	v_add_nc_u32_e32 v0, 24, v1
	v_ashrrev_i32_e32 v5, 31, v4
	ds_load_2addr_stride64_b64 v[0:3], v0 offset0:5 offset1:13
	v_lshlrev_b64 v[4:5], 3, v[4:5]
	s_delay_alu instid0(VALU_DEP_1) | instskip(NEXT) | instid1(VALU_DEP_2)
	v_add_co_u32 v6, vcc_lo, s8, v4
	v_add_co_ci_u32_e32 v7, vcc_lo, s9, v5, vcc_lo
	v_add_co_u32 v4, vcc_lo, s10, v4
	v_add_co_ci_u32_e32 v5, vcc_lo, s11, v5, vcc_lo
	s_waitcnt lgkmcnt(0)
	global_store_b64 v[6:7], v[2:3], off
	global_store_b64 v[4:5], v[0:1], off
.LBB1_38:
	s_nop 0
	s_sendmsg sendmsg(MSG_DEALLOC_VGPRS)
	s_endpgm
	.section	.rodata,"a",@progbits
	.p2align	6, 0x0
	.amdhsa_kernel _Z6kernelIdLi1ELi16ELi32ELi3ELi4ELi16EEvT_S0_iiPKS0_S2_PS0_S3_
		.amdhsa_group_segment_fixed_size 8192
		.amdhsa_private_segment_fixed_size 0
		.amdhsa_kernarg_size 56
		.amdhsa_user_sgpr_count 14
		.amdhsa_user_sgpr_dispatch_ptr 0
		.amdhsa_user_sgpr_queue_ptr 0
		.amdhsa_user_sgpr_kernarg_segment_ptr 1
		.amdhsa_user_sgpr_dispatch_id 0
		.amdhsa_user_sgpr_private_segment_size 0
		.amdhsa_wavefront_size32 1
		.amdhsa_uses_dynamic_stack 0
		.amdhsa_enable_private_segment 0
		.amdhsa_system_sgpr_workgroup_id_x 1
		.amdhsa_system_sgpr_workgroup_id_y 1
		.amdhsa_system_sgpr_workgroup_id_z 0
		.amdhsa_system_sgpr_workgroup_info 0
		.amdhsa_system_vgpr_workitem_id 1
		.amdhsa_next_free_vgpr 25
		.amdhsa_next_free_sgpr 17
		.amdhsa_reserve_vcc 1
		.amdhsa_float_round_mode_32 0
		.amdhsa_float_round_mode_16_64 0
		.amdhsa_float_denorm_mode_32 3
		.amdhsa_float_denorm_mode_16_64 3
		.amdhsa_dx10_clamp 1
		.amdhsa_ieee_mode 1
		.amdhsa_fp16_overflow 0
		.amdhsa_workgroup_processor_mode 1
		.amdhsa_memory_ordered 1
		.amdhsa_forward_progress 0
		.amdhsa_shared_vgpr_count 0
		.amdhsa_exception_fp_ieee_invalid_op 0
		.amdhsa_exception_fp_denorm_src 0
		.amdhsa_exception_fp_ieee_div_zero 0
		.amdhsa_exception_fp_ieee_overflow 0
		.amdhsa_exception_fp_ieee_underflow 0
		.amdhsa_exception_fp_ieee_inexact 0
		.amdhsa_exception_int_div_zero 0
	.end_amdhsa_kernel
	.section	.text._Z6kernelIdLi1ELi16ELi32ELi3ELi4ELi16EEvT_S0_iiPKS0_S2_PS0_S3_,"axG",@progbits,_Z6kernelIdLi1ELi16ELi32ELi3ELi4ELi16EEvT_S0_iiPKS0_S2_PS0_S3_,comdat
.Lfunc_end1:
	.size	_Z6kernelIdLi1ELi16ELi32ELi3ELi4ELi16EEvT_S0_iiPKS0_S2_PS0_S3_, .Lfunc_end1-_Z6kernelIdLi1ELi16ELi32ELi3ELi4ELi16EEvT_S0_iiPKS0_S2_PS0_S3_
                                        ; -- End function
	.section	.AMDGPU.csdata,"",@progbits
; Kernel info:
; codeLenInByte = 2264
; NumSgprs: 19
; NumVgprs: 25
; ScratchSize: 0
; MemoryBound: 0
; FloatMode: 240
; IeeeMode: 1
; LDSByteSize: 8192 bytes/workgroup (compile time only)
; SGPRBlocks: 2
; VGPRBlocks: 3
; NumSGPRsForWavesPerEU: 19
; NumVGPRsForWavesPerEU: 25
; Occupancy: 16
; WaveLimiterHint : 0
; COMPUTE_PGM_RSRC2:SCRATCH_EN: 0
; COMPUTE_PGM_RSRC2:USER_SGPR: 14
; COMPUTE_PGM_RSRC2:TRAP_HANDLER: 0
; COMPUTE_PGM_RSRC2:TGID_X_EN: 1
; COMPUTE_PGM_RSRC2:TGID_Y_EN: 1
; COMPUTE_PGM_RSRC2:TGID_Z_EN: 0
; COMPUTE_PGM_RSRC2:TIDIG_COMP_CNT: 1
	.text
	.p2alignl 7, 3214868480
	.fill 96, 4, 3214868480
	.type	__hip_cuid_128b10d8c27e2fef,@object ; @__hip_cuid_128b10d8c27e2fef
	.section	.bss,"aw",@nobits
	.globl	__hip_cuid_128b10d8c27e2fef
__hip_cuid_128b10d8c27e2fef:
	.byte	0                               ; 0x0
	.size	__hip_cuid_128b10d8c27e2fef, 1

	.ident	"AMD clang version 19.0.0git (https://github.com/RadeonOpenCompute/llvm-project roc-6.4.0 25133 c7fe45cf4b819c5991fe208aaa96edf142730f1d)"
	.section	".note.GNU-stack","",@progbits
	.addrsig
	.addrsig_sym __hip_cuid_128b10d8c27e2fef
	.amdgpu_metadata
---
amdhsa.kernels:
  - .args:
      - .offset:         0
        .size:           4
        .value_kind:     by_value
      - .offset:         4
        .size:           4
        .value_kind:     by_value
      - .offset:         8
        .size:           4
        .value_kind:     by_value
      - .offset:         12
        .size:           4
        .value_kind:     by_value
      - .actual_access:  read_only
        .address_space:  global
        .offset:         16
        .size:           8
        .value_kind:     global_buffer
      - .actual_access:  read_only
        .address_space:  global
        .offset:         24
        .size:           8
        .value_kind:     global_buffer
      - .actual_access:  write_only
        .address_space:  global
        .offset:         32
        .size:           8
        .value_kind:     global_buffer
      - .actual_access:  write_only
        .address_space:  global
        .offset:         40
        .size:           8
        .value_kind:     global_buffer
    .group_segment_fixed_size: 12288
    .kernarg_segment_align: 8
    .kernarg_segment_size: 48
    .language:       OpenCL C
    .language_version:
      - 2
      - 0
    .max_flat_workgroup_size: 1024
    .name:           _Z6kernelIfLi1ELi16ELi96ELi3ELi4ELi16EEvT_S0_iiPKS0_S2_PS0_S3_
    .private_segment_fixed_size: 0
    .sgpr_count:     22
    .sgpr_spill_count: 0
    .symbol:         _Z6kernelIfLi1ELi16ELi96ELi3ELi4ELi16EEvT_S0_iiPKS0_S2_PS0_S3_.kd
    .uniform_work_group_size: 1
    .uses_dynamic_stack: false
    .vgpr_count:     24
    .vgpr_spill_count: 0
    .wavefront_size: 32
    .workgroup_processor_mode: 1
  - .args:
      - .offset:         0
        .size:           8
        .value_kind:     by_value
      - .offset:         8
        .size:           8
        .value_kind:     by_value
      - .offset:         16
        .size:           4
        .value_kind:     by_value
      - .offset:         20
        .size:           4
        .value_kind:     by_value
      - .actual_access:  read_only
        .address_space:  global
        .offset:         24
        .size:           8
        .value_kind:     global_buffer
      - .actual_access:  read_only
        .address_space:  global
        .offset:         32
        .size:           8
        .value_kind:     global_buffer
      - .actual_access:  write_only
        .address_space:  global
        .offset:         40
        .size:           8
        .value_kind:     global_buffer
      - .actual_access:  write_only
        .address_space:  global
        .offset:         48
        .size:           8
        .value_kind:     global_buffer
    .group_segment_fixed_size: 8192
    .kernarg_segment_align: 8
    .kernarg_segment_size: 56
    .language:       OpenCL C
    .language_version:
      - 2
      - 0
    .max_flat_workgroup_size: 1024
    .name:           _Z6kernelIdLi1ELi16ELi32ELi3ELi4ELi16EEvT_S0_iiPKS0_S2_PS0_S3_
    .private_segment_fixed_size: 0
    .sgpr_count:     19
    .sgpr_spill_count: 0
    .symbol:         _Z6kernelIdLi1ELi16ELi32ELi3ELi4ELi16EEvT_S0_iiPKS0_S2_PS0_S3_.kd
    .uniform_work_group_size: 1
    .uses_dynamic_stack: false
    .vgpr_count:     25
    .vgpr_spill_count: 0
    .wavefront_size: 32
    .workgroup_processor_mode: 1
amdhsa.target:   amdgcn-amd-amdhsa--gfx1100
amdhsa.version:
  - 1
  - 2
...

	.end_amdgpu_metadata
